;; amdgpu-corpus repo=ROCm/rocFFT kind=compiled arch=gfx906 opt=O3
	.text
	.amdgcn_target "amdgcn-amd-amdhsa--gfx906"
	.amdhsa_code_object_version 6
	.protected	fft_rtc_fwd_len240_factors_8_5_6_wgs_384_tpt_48_sp_op_CI_CI_sbcc_dirReg ; -- Begin function fft_rtc_fwd_len240_factors_8_5_6_wgs_384_tpt_48_sp_op_CI_CI_sbcc_dirReg
	.globl	fft_rtc_fwd_len240_factors_8_5_6_wgs_384_tpt_48_sp_op_CI_CI_sbcc_dirReg
	.p2align	8
	.type	fft_rtc_fwd_len240_factors_8_5_6_wgs_384_tpt_48_sp_op_CI_CI_sbcc_dirReg,@function
fft_rtc_fwd_len240_factors_8_5_6_wgs_384_tpt_48_sp_op_CI_CI_sbcc_dirReg: ; @fft_rtc_fwd_len240_factors_8_5_6_wgs_384_tpt_48_sp_op_CI_CI_sbcc_dirReg
; %bb.0:
	s_load_dwordx4 s[0:3], s[4:5], 0x18
	s_load_dwordx2 s[28:29], s[4:5], 0x28
	s_mov_b32 s7, 0
	s_mov_b64 s[26:27], 0
	s_waitcnt lgkmcnt(0)
	s_load_dwordx2 s[20:21], s[0:1], 0x8
	s_waitcnt lgkmcnt(0)
	s_add_u32 s8, s20, -1
	s_addc_u32 s9, s21, -1
	s_lshr_b64 s[8:9], s[8:9], 3
	s_add_u32 s30, s8, 1
	s_addc_u32 s31, s9, 0
	v_mov_b32_e32 v1, s30
	v_mov_b32_e32 v2, s31
	v_cmp_lt_u64_e32 vcc, s[6:7], v[1:2]
	s_cbranch_vccnz .LBB0_2
; %bb.1:
	v_cvt_f32_u32_e32 v1, s30
	s_sub_i32 s8, 0, s30
	s_mov_b32 s27, s7
	v_rcp_iflag_f32_e32 v1, v1
	v_mul_f32_e32 v1, 0x4f7ffffe, v1
	v_cvt_u32_f32_e32 v1, v1
	v_readfirstlane_b32 s9, v1
	s_mul_i32 s8, s8, s9
	s_mul_hi_u32 s8, s9, s8
	s_add_i32 s9, s9, s8
	s_mul_hi_u32 s8, s6, s9
	s_mul_i32 s10, s8, s30
	s_sub_i32 s10, s6, s10
	s_add_i32 s9, s8, 1
	s_sub_i32 s11, s10, s30
	s_cmp_ge_u32 s10, s30
	s_cselect_b32 s8, s9, s8
	s_cselect_b32 s10, s11, s10
	s_add_i32 s9, s8, 1
	s_cmp_ge_u32 s10, s30
	s_cselect_b32 s26, s9, s8
.LBB0_2:
	s_mul_i32 s22, s26, s31
	s_mul_hi_u32 s23, s26, s30
	s_load_dwordx4 s[12:15], s[4:5], 0x60
	s_load_dwordx4 s[16:19], s[2:3], 0x0
	;; [unrolled: 1-line block ×3, first 2 shown]
	s_add_i32 s23, s23, s22
	s_mul_i32 s22, s26, s30
	s_sub_u32 s22, s6, s22
	s_subb_u32 s23, 0, s23
	v_mov_b32_e32 v1, s22
	v_alignbit_b32 v1, s23, v1, 29
	s_waitcnt lgkmcnt(0)
	v_mul_lo_u32 v2, s18, v1
	s_lshl_b64 s[22:23], s[22:23], 3
	s_load_dwordx2 s[24:25], s[4:5], 0x0
	s_load_dwordx2 s[34:35], s[4:5], 0x10
	s_mul_hi_u32 s4, s18, s22
	v_mul_lo_u32 v1, s10, v1
	v_add_u32_e32 v2, s4, v2
	s_mul_i32 s4, s19, s22
	v_add_u32_e32 v4, s4, v2
	s_mul_i32 s4, s18, s22
	v_mov_b32_e32 v3, s4
	s_mul_hi_u32 s4, s10, s22
	v_add_u32_e32 v1, s4, v1
	s_mul_i32 s4, s11, s22
	v_add_u32_e32 v21, s4, v1
	s_waitcnt lgkmcnt(0)
	v_cmp_lt_u64_e64 s[4:5], s[34:35], 3
	s_mul_i32 s33, s10, s22
	v_mov_b32_e32 v22, s33
	s_and_b64 vcc, exec, s[4:5]
	s_cbranch_vccnz .LBB0_11
; %bb.3:
	s_add_u32 s4, s28, 16
	s_addc_u32 s5, s29, 0
	s_add_u32 s36, s2, 16
	s_addc_u32 s37, s3, 0
	s_add_u32 s38, s0, 16
	v_mov_b32_e32 v1, s34
	s_addc_u32 s39, s1, 0
	s_mov_b64 s[40:41], 2
	s_mov_b32 s42, 0
	v_mov_b32_e32 v2, s35
	s_branch .LBB0_5
.LBB0_4:                                ;   in Loop: Header=BB0_5 Depth=1
	s_mul_i32 s31, s44, s31
	s_mul_hi_u32 s33, s44, s30
	s_add_i32 s31, s33, s31
	s_mul_i32 s33, s45, s30
	s_add_i32 s31, s31, s33
	s_mul_i32 s33, s0, s45
	s_mul_hi_u32 s43, s0, s44
	s_load_dwordx2 s[46:47], s[36:37], 0x0
	s_add_i32 s33, s43, s33
	s_mul_i32 s43, s1, s44
	s_add_i32 s33, s33, s43
	s_mul_i32 s43, s0, s44
	s_sub_u32 s43, s26, s43
	s_subb_u32 s33, s27, s33
	s_waitcnt lgkmcnt(0)
	s_mul_i32 s26, s46, s33
	s_mul_hi_u32 s27, s46, s43
	s_add_i32 s26, s27, s26
	s_mul_i32 s27, s47, s43
	s_add_i32 s26, s26, s27
	v_mov_b32_e32 v5, s26
	s_load_dwordx2 s[26:27], s[4:5], 0x0
	s_mul_i32 s30, s44, s30
	s_mul_i32 s44, s46, s43
	v_add_co_u32_e32 v3, vcc, s44, v3
	s_waitcnt lgkmcnt(0)
	s_mul_i32 s33, s26, s33
	s_mul_hi_u32 s44, s26, s43
	s_add_i32 s33, s44, s33
	s_mul_i32 s27, s27, s43
	s_add_i32 s27, s33, s27
	s_add_u32 s40, s40, 1
	s_addc_u32 s41, s41, 0
	v_addc_co_u32_e32 v4, vcc, v5, v4, vcc
	s_mul_i32 s26, s26, s43
	s_add_u32 s4, s4, 8
	v_mov_b32_e32 v5, s27
	v_add_co_u32_e32 v22, vcc, s26, v22
	s_addc_u32 s5, s5, 0
	v_addc_co_u32_e32 v21, vcc, v5, v21, vcc
	s_add_u32 s36, s36, 8
	s_addc_u32 s37, s37, 0
	v_cmp_ge_u64_e32 vcc, s[40:41], v[1:2]
	s_add_u32 s38, s38, 8
	s_addc_u32 s39, s39, 0
	s_mov_b64 s[26:27], s[0:1]
	s_cbranch_vccnz .LBB0_9
.LBB0_5:                                ; =>This Inner Loop Header: Depth=1
	s_load_dwordx2 s[44:45], s[38:39], 0x0
	s_waitcnt lgkmcnt(0)
	s_or_b64 s[0:1], s[26:27], s[44:45]
	s_mov_b32 s43, s1
	s_cmp_lg_u64 s[42:43], 0
	s_cbranch_scc0 .LBB0_7
; %bb.6:                                ;   in Loop: Header=BB0_5 Depth=1
	v_cvt_f32_u32_e32 v5, s44
	v_cvt_f32_u32_e32 v6, s45
	s_sub_u32 s0, 0, s44
	s_subb_u32 s1, 0, s45
	v_mac_f32_e32 v5, 0x4f800000, v6
	v_rcp_f32_e32 v5, v5
	v_mul_f32_e32 v5, 0x5f7ffffc, v5
	v_mul_f32_e32 v6, 0x2f800000, v5
	v_trunc_f32_e32 v6, v6
	v_mac_f32_e32 v5, 0xcf800000, v6
	v_cvt_u32_f32_e32 v6, v6
	v_cvt_u32_f32_e32 v5, v5
	v_readfirstlane_b32 s33, v6
	v_readfirstlane_b32 s43, v5
	s_mul_i32 s46, s0, s33
	s_mul_hi_u32 s48, s0, s43
	s_mul_i32 s47, s1, s43
	s_add_i32 s46, s48, s46
	s_mul_i32 s49, s0, s43
	s_add_i32 s46, s46, s47
	s_mul_hi_u32 s47, s43, s46
	s_mul_i32 s48, s43, s46
	s_mul_hi_u32 s43, s43, s49
	s_add_u32 s43, s43, s48
	s_addc_u32 s47, 0, s47
	s_mul_hi_u32 s50, s33, s49
	s_mul_i32 s49, s33, s49
	s_add_u32 s43, s43, s49
	s_mul_hi_u32 s48, s33, s46
	s_addc_u32 s43, s47, s50
	s_addc_u32 s47, s48, 0
	s_mul_i32 s46, s33, s46
	s_add_u32 s43, s43, s46
	s_addc_u32 s46, 0, s47
	v_add_co_u32_e32 v5, vcc, s43, v5
	s_cmp_lg_u64 vcc, 0
	s_addc_u32 s33, s33, s46
	v_readfirstlane_b32 s46, v5
	s_mul_i32 s43, s0, s33
	s_mul_hi_u32 s47, s0, s46
	s_add_i32 s43, s47, s43
	s_mul_i32 s1, s1, s46
	s_add_i32 s43, s43, s1
	s_mul_i32 s0, s0, s46
	s_mul_hi_u32 s47, s33, s0
	s_mul_i32 s48, s33, s0
	s_mul_i32 s50, s46, s43
	s_mul_hi_u32 s0, s46, s0
	s_mul_hi_u32 s49, s46, s43
	s_add_u32 s0, s0, s50
	s_addc_u32 s46, 0, s49
	s_add_u32 s0, s0, s48
	s_mul_hi_u32 s1, s33, s43
	s_addc_u32 s0, s46, s47
	s_addc_u32 s1, s1, 0
	s_mul_i32 s43, s33, s43
	s_add_u32 s0, s0, s43
	s_addc_u32 s1, 0, s1
	v_add_co_u32_e32 v5, vcc, s0, v5
	s_cmp_lg_u64 vcc, 0
	s_addc_u32 s0, s33, s1
	v_readfirstlane_b32 s43, v5
	s_mul_i32 s33, s26, s0
	s_mul_hi_u32 s46, s26, s43
	s_mul_hi_u32 s1, s26, s0
	s_add_u32 s33, s46, s33
	s_addc_u32 s1, 0, s1
	s_mul_hi_u32 s47, s27, s43
	s_mul_i32 s43, s27, s43
	s_add_u32 s33, s33, s43
	s_mul_hi_u32 s46, s27, s0
	s_addc_u32 s1, s1, s47
	s_addc_u32 s33, s46, 0
	s_mul_i32 s0, s27, s0
	s_add_u32 s43, s1, s0
	s_addc_u32 s33, 0, s33
	s_mul_i32 s0, s44, s33
	s_mul_hi_u32 s1, s44, s43
	s_add_i32 s0, s1, s0
	s_mul_i32 s1, s45, s43
	s_add_i32 s46, s0, s1
	s_mul_i32 s1, s44, s43
	v_mov_b32_e32 v5, s1
	s_sub_i32 s0, s27, s46
	v_sub_co_u32_e32 v5, vcc, s26, v5
	s_cmp_lg_u64 vcc, 0
	s_subb_u32 s47, s0, s45
	v_subrev_co_u32_e64 v6, s[0:1], s44, v5
	s_cmp_lg_u64 s[0:1], 0
	s_subb_u32 s0, s47, 0
	s_cmp_ge_u32 s0, s45
	v_readfirstlane_b32 s47, v6
	s_cselect_b32 s1, -1, 0
	s_cmp_ge_u32 s47, s44
	s_cselect_b32 s47, -1, 0
	s_cmp_eq_u32 s0, s45
	s_cselect_b32 s0, s47, s1
	s_add_u32 s1, s43, 1
	s_addc_u32 s47, s33, 0
	s_add_u32 s48, s43, 2
	s_addc_u32 s49, s33, 0
	s_cmp_lg_u32 s0, 0
	s_cselect_b32 s0, s48, s1
	s_cselect_b32 s1, s49, s47
	s_cmp_lg_u64 vcc, 0
	s_subb_u32 s46, s27, s46
	s_cmp_ge_u32 s46, s45
	v_readfirstlane_b32 s48, v5
	s_cselect_b32 s47, -1, 0
	s_cmp_ge_u32 s48, s44
	s_cselect_b32 s48, -1, 0
	s_cmp_eq_u32 s46, s45
	s_cselect_b32 s46, s48, s47
	s_cmp_lg_u32 s46, 0
	s_cselect_b32 s1, s1, s33
	s_cselect_b32 s0, s0, s43
	s_cbranch_execnz .LBB0_4
	s_branch .LBB0_8
.LBB0_7:                                ;   in Loop: Header=BB0_5 Depth=1
                                        ; implicit-def: $sgpr0_sgpr1
.LBB0_8:                                ;   in Loop: Header=BB0_5 Depth=1
	v_cvt_f32_u32_e32 v5, s44
	s_sub_i32 s0, 0, s44
	v_rcp_iflag_f32_e32 v5, v5
	v_mul_f32_e32 v5, 0x4f7ffffe, v5
	v_cvt_u32_f32_e32 v5, v5
	v_readfirstlane_b32 s1, v5
	s_mul_i32 s0, s0, s1
	s_mul_hi_u32 s0, s1, s0
	s_add_i32 s1, s1, s0
	s_mul_hi_u32 s0, s26, s1
	s_mul_i32 s33, s0, s44
	s_sub_i32 s33, s26, s33
	s_add_i32 s1, s0, 1
	s_sub_i32 s43, s33, s44
	s_cmp_ge_u32 s33, s44
	s_cselect_b32 s0, s1, s0
	s_cselect_b32 s33, s43, s33
	s_add_i32 s1, s0, 1
	s_cmp_ge_u32 s33, s44
	s_cselect_b32 s0, s1, s0
	s_mov_b32 s1, s42
	s_branch .LBB0_4
.LBB0_9:
	v_mov_b32_e32 v1, s30
	v_mov_b32_e32 v2, s31
	v_cmp_lt_u64_e32 vcc, s[6:7], v[1:2]
	s_mov_b64 s[26:27], 0
	s_cbranch_vccnz .LBB0_11
; %bb.10:
	v_cvt_f32_u32_e32 v1, s30
	s_sub_i32 s0, 0, s30
	v_rcp_iflag_f32_e32 v1, v1
	v_mul_f32_e32 v1, 0x4f7ffffe, v1
	v_cvt_u32_f32_e32 v1, v1
	v_readfirstlane_b32 s1, v1
	s_mul_i32 s0, s0, s1
	s_mul_hi_u32 s0, s1, s0
	s_add_i32 s1, s1, s0
	s_mul_hi_u32 s0, s6, s1
	s_mul_i32 s4, s0, s30
	s_sub_i32 s4, s6, s4
	s_add_i32 s1, s0, 1
	s_sub_i32 s5, s4, s30
	s_cmp_ge_u32 s4, s30
	s_cselect_b32 s0, s1, s0
	s_cselect_b32 s4, s5, s4
	s_add_i32 s1, s0, 1
	s_cmp_ge_u32 s4, s30
	s_cselect_b32 s26, s1, s0
.LBB0_11:
	s_lshl_b64 s[0:1], s[34:35], 3
	s_add_u32 s2, s2, s0
	s_addc_u32 s3, s3, s1
	s_load_dwordx2 s[2:3], s[2:3], 0x0
	v_and_b32_e32 v24, 7, v0
	v_lshrrev_b32_e32 v23, 3, v0
                                        ; implicit-def: $vgpr6
                                        ; implicit-def: $vgpr8
                                        ; implicit-def: $vgpr10
                                        ; implicit-def: $vgpr12
                                        ; implicit-def: $vgpr16
                                        ; implicit-def: $vgpr18
                                        ; implicit-def: $vgpr20
	s_waitcnt lgkmcnt(0)
	s_mul_i32 s3, s3, s26
	s_mul_hi_u32 s4, s2, s26
	s_add_i32 s3, s4, s3
	s_mul_i32 s2, s2, s26
	s_add_u32 s28, s28, s0
	v_mov_b32_e32 v1, s3
	v_add_co_u32_e32 v3, vcc, s2, v3
	s_addc_u32 s29, s29, s1
	v_addc_co_u32_e32 v4, vcc, v1, v4, vcc
	s_add_u32 s0, s22, 8
	v_mov_b32_e32 v1, s20
	s_addc_u32 s1, s23, 0
	v_mov_b32_e32 v2, s21
	s_movk_i32 s2, 0xef
	v_cmp_gt_u64_e32 vcc, s[0:1], v[1:2]
	v_cmp_le_u64_e64 s[0:1], s[0:1], v[1:2]
	v_cmp_lt_u32_e64 s[4:5], s2, v0
	s_movk_i32 s2, 0xf0
	v_cmp_gt_u32_e64 s[6:7], s2, v0
	s_and_b64 s[2:3], s[6:7], s[0:1]
                                        ; implicit-def: $vgpr2
	s_and_saveexec_b64 s[30:31], s[2:3]
	s_cbranch_execz .LBB0_13
; %bb.12:
	v_mad_u64_u32 v[1:2], s[2:3], s18, v24, 0
	v_mad_u64_u32 v[5:6], s[2:3], s16, v23, 0
	;; [unrolled: 1-line block ×3, first 2 shown]
	v_mov_b32_e32 v2, v6
	v_mad_u64_u32 v[8:9], s[2:3], s17, v23, v[2:3]
	v_mov_b32_e32 v2, v7
	v_mov_b32_e32 v9, s13
	;; [unrolled: 1-line block ×3, first 2 shown]
	v_lshlrev_b64 v[7:8], 3, v[3:4]
	v_add_u32_e32 v11, 30, v23
	v_add_co_u32_e64 v10, s[2:3], s12, v7
	v_addc_co_u32_e64 v9, s[2:3], v9, v8, s[2:3]
	v_mad_u64_u32 v[7:8], s[2:3], s16, v11, 0
	v_lshlrev_b64 v[1:2], 3, v[1:2]
	v_add_co_u32_e64 v33, s[2:3], v10, v1
	v_addc_co_u32_e64 v34, s[2:3], v9, v2, s[2:3]
	v_lshlrev_b64 v[1:2], 3, v[5:6]
	v_mov_b32_e32 v5, v8
	v_mad_u64_u32 v[5:6], s[2:3], s17, v11, v[5:6]
	v_add_u32_e32 v6, 60, v23
	v_mad_u64_u32 v[9:10], s[2:3], s16, v6, 0
	v_add_co_u32_e64 v11, s[2:3], v33, v1
	v_mov_b32_e32 v8, v5
	v_mov_b32_e32 v5, v10
	v_addc_co_u32_e64 v12, s[2:3], v34, v2, s[2:3]
	v_lshlrev_b64 v[1:2], 3, v[7:8]
	v_mad_u64_u32 v[5:6], s[2:3], s17, v6, v[5:6]
	v_add_u32_e32 v8, 0x5a, v23
	v_mad_u64_u32 v[6:7], s[2:3], s16, v8, 0
	v_add_co_u32_e64 v13, s[2:3], v33, v1
	v_mov_b32_e32 v10, v5
	v_mov_b32_e32 v5, v7
	v_addc_co_u32_e64 v14, s[2:3], v34, v2, s[2:3]
	v_lshlrev_b64 v[1:2], 3, v[9:10]
	v_mad_u64_u32 v[7:8], s[2:3], s17, v8, v[5:6]
	v_add_u32_e32 v10, 0x78, v23
	v_mad_u64_u32 v[8:9], s[2:3], s16, v10, 0
	v_add_co_u32_e64 v15, s[2:3], v33, v1
	v_mov_b32_e32 v5, v9
	v_addc_co_u32_e64 v16, s[2:3], v34, v2, s[2:3]
	v_lshlrev_b64 v[1:2], 3, v[6:7]
	v_mad_u64_u32 v[5:6], s[2:3], s17, v10, v[5:6]
	v_add_u32_e32 v10, 0x96, v23
	v_mad_u64_u32 v[6:7], s[2:3], s16, v10, 0
	v_add_co_u32_e64 v17, s[2:3], v33, v1
	v_mov_b32_e32 v9, v5
	v_mov_b32_e32 v5, v7
	v_addc_co_u32_e64 v18, s[2:3], v34, v2, s[2:3]
	v_lshlrev_b64 v[1:2], 3, v[8:9]
	v_mad_u64_u32 v[7:8], s[2:3], s17, v10, v[5:6]
	v_add_u32_e32 v10, 0xb4, v23
	v_mad_u64_u32 v[8:9], s[2:3], s16, v10, 0
	v_add_co_u32_e64 v25, s[2:3], v33, v1
	v_mov_b32_e32 v5, v9
	v_addc_co_u32_e64 v26, s[2:3], v34, v2, s[2:3]
	v_lshlrev_b64 v[1:2], 3, v[6:7]
	v_mad_u64_u32 v[5:6], s[2:3], s17, v10, v[5:6]
	v_add_co_u32_e64 v27, s[2:3], v33, v1
	v_mov_b32_e32 v9, v5
	v_add_u32_e32 v5, 0xd2, v23
	v_addc_co_u32_e64 v28, s[2:3], v34, v2, s[2:3]
	v_mad_u64_u32 v[19:20], s[2:3], s16, v5, 0
	v_lshlrev_b64 v[1:2], 3, v[8:9]
	v_add_co_u32_e64 v29, s[2:3], v33, v1
	v_mov_b32_e32 v1, v20
	v_addc_co_u32_e64 v30, s[2:3], v34, v2, s[2:3]
	v_mad_u64_u32 v[31:32], s[2:3], s17, v5, v[1:2]
	global_load_dwordx2 v[1:2], v[11:12], off
	global_load_dwordx2 v[5:6], v[13:14], off
	;; [unrolled: 1-line block ×4, first 2 shown]
	v_mov_b32_e32 v20, v31
	v_lshlrev_b64 v[11:12], 3, v[19:20]
	v_add_co_u32_e64 v13, s[2:3], v33, v11
	v_addc_co_u32_e64 v14, s[2:3], v34, v12, s[2:3]
	global_load_dwordx2 v[11:12], v[25:26], off
	global_load_dwordx2 v[15:16], v[27:28], off
	;; [unrolled: 1-line block ×4, first 2 shown]
.LBB0_13:
	s_or_b64 exec, exec, s[30:31]
	s_load_dwordx2 s[28:29], s[28:29], 0x0
	v_cndmask_b32_e64 v13, 0, 1, vcc
	v_cmp_ne_u32_e64 s[2:3], 1, v13
	s_andn2_b64 vcc, exec, vcc
	v_or_b32_e32 v13, s22, v24
	s_cbranch_vccnz .LBB0_17
; %bb.14:
	v_mov_b32_e32 v14, s23
	v_cmp_gt_u64_e32 vcc, s[20:21], v[13:14]
	s_and_b64 s[30:31], s[6:7], vcc
	s_and_saveexec_b64 s[6:7], s[30:31]
	s_cbranch_execz .LBB0_16
; %bb.15:
	s_waitcnt vmcnt(7)
	v_mad_u64_u32 v[1:2], s[30:31], s18, v24, 0
	s_waitcnt vmcnt(6)
	v_mad_u64_u32 v[5:6], s[30:31], s16, v23, 0
	;; [unrolled: 2-line block ×3, first 2 shown]
	v_mov_b32_e32 v2, v6
	s_waitcnt vmcnt(4)
	v_mad_u64_u32 v[8:9], s[18:19], s17, v23, v[2:3]
	v_lshlrev_b64 v[3:4], 3, v[3:4]
	v_mov_b32_e32 v2, v7
	v_mov_b32_e32 v6, v8
	;; [unrolled: 1-line block ×3, first 2 shown]
	v_add_co_u32_e32 v8, vcc, s12, v3
	v_add_u32_e32 v9, 30, v23
	v_addc_co_u32_e32 v7, vcc, v7, v4, vcc
	v_mad_u64_u32 v[3:4], s[12:13], s16, v9, 0
	v_lshlrev_b64 v[1:2], 3, v[1:2]
	v_add_u32_e32 v32, 0xd2, v23
	s_waitcnt vmcnt(0)
	v_add_co_u32_e32 v20, vcc, v8, v1
	v_addc_co_u32_e32 v31, vcc, v7, v2, vcc
	v_lshlrev_b64 v[1:2], 3, v[5:6]
	v_mad_u64_u32 v[4:5], s[12:13], s17, v9, v[4:5]
	v_add_u32_e32 v7, 60, v23
	v_mad_u64_u32 v[5:6], s[12:13], s16, v7, 0
	v_add_co_u32_e32 v11, vcc, v20, v1
	v_addc_co_u32_e32 v12, vcc, v31, v2, vcc
	v_lshlrev_b64 v[1:2], 3, v[3:4]
	v_mov_b32_e32 v3, v6
	v_mad_u64_u32 v[3:4], s[12:13], s17, v7, v[3:4]
	v_add_u32_e32 v4, 0x5a, v23
	v_mad_u64_u32 v[7:8], s[12:13], s16, v4, 0
	v_add_co_u32_e32 v14, vcc, v20, v1
	v_mov_b32_e32 v6, v3
	v_mov_b32_e32 v3, v8
	v_addc_co_u32_e32 v15, vcc, v31, v2, vcc
	v_lshlrev_b64 v[1:2], 3, v[5:6]
	v_mad_u64_u32 v[3:4], s[12:13], s17, v4, v[3:4]
	v_add_u32_e32 v6, 0x78, v23
	v_mad_u64_u32 v[4:5], s[12:13], s16, v6, 0
	v_add_co_u32_e32 v16, vcc, v20, v1
	v_mov_b32_e32 v8, v3
	v_mov_b32_e32 v3, v5
	v_addc_co_u32_e32 v17, vcc, v31, v2, vcc
	v_lshlrev_b64 v[1:2], 3, v[7:8]
	v_mad_u64_u32 v[5:6], s[12:13], s17, v6, v[3:4]
	v_add_u32_e32 v8, 0x96, v23
	v_mad_u64_u32 v[6:7], s[12:13], s16, v8, 0
	v_add_co_u32_e32 v18, vcc, v20, v1
	v_mov_b32_e32 v3, v7
	v_addc_co_u32_e32 v19, vcc, v31, v2, vcc
	v_lshlrev_b64 v[1:2], 3, v[4:5]
	v_mad_u64_u32 v[3:4], s[12:13], s17, v8, v[3:4]
	v_add_u32_e32 v5, 0xb4, v23
	v_add_co_u32_e32 v25, vcc, v20, v1
	v_mov_b32_e32 v7, v3
	v_mad_u64_u32 v[3:4], s[12:13], s16, v5, 0
	v_addc_co_u32_e32 v26, vcc, v31, v2, vcc
	v_lshlrev_b64 v[1:2], 3, v[6:7]
	v_mad_u64_u32 v[29:30], s[12:13], s16, v32, 0
	v_add_co_u32_e32 v27, vcc, v20, v1
	v_mov_b32_e32 v1, v4
	v_mad_u64_u32 v[4:5], s[12:13], s17, v5, v[1:2]
	v_addc_co_u32_e32 v28, vcc, v31, v2, vcc
	global_load_dwordx2 v[1:2], v[11:12], off
	global_load_dwordx2 v[5:6], v[14:15], off
	;; [unrolled: 1-line block ×4, first 2 shown]
	v_mov_b32_e32 v11, v30
	v_mad_u64_u32 v[11:12], s[12:13], s17, v32, v[11:12]
	v_lshlrev_b64 v[3:4], 3, v[3:4]
	v_mov_b32_e32 v30, v11
	v_add_co_u32_e32 v3, vcc, v20, v3
	v_lshlrev_b64 v[11:12], 3, v[29:30]
	v_addc_co_u32_e32 v4, vcc, v31, v4, vcc
	v_add_co_u32_e32 v29, vcc, v20, v11
	v_addc_co_u32_e32 v30, vcc, v31, v12, vcc
	global_load_dwordx2 v[11:12], v[25:26], off
	global_load_dwordx2 v[15:16], v[27:28], off
	;; [unrolled: 1-line block ×4, first 2 shown]
.LBB0_16:
	s_or_b64 exec, exec, s[6:7]
.LBB0_17:
	s_waitcnt vmcnt(3)
	v_sub_f32_e32 v25, v1, v11
	v_sub_f32_e32 v26, v2, v12
	s_waitcnt vmcnt(1)
	v_sub_f32_e32 v12, v7, v17
	v_sub_f32_e32 v18, v8, v18
	;; [unrolled: 1-line block ×4, first 2 shown]
	s_waitcnt vmcnt(0)
	v_sub_f32_e32 v28, v9, v19
	v_sub_f32_e32 v16, v10, v20
	;; [unrolled: 1-line block ×3, first 2 shown]
	v_add_f32_e32 v29, v26, v12
	v_fma_f32 v17, v25, 2.0, -v20
	v_fma_f32 v19, v26, 2.0, -v29
	v_sub_f32_e32 v31, v27, v16
	v_add_f32_e32 v32, v15, v28
	v_fma_f32 v14, v27, 2.0, -v31
	v_fma_f32 v30, v15, 2.0, -v32
	v_mov_b32_e32 v3, v17
	v_mov_b32_e32 v4, v19
	v_fmac_f32_e32 v3, 0xbf3504f3, v14
	v_fmac_f32_e32 v4, 0xbf3504f3, v30
	v_lshlrev_b32_e32 v11, 6, v23
	s_and_saveexec_b64 s[6:7], s[4:5]
	s_xor_b64 s[4:5], exec, s[6:7]
; %bb.18:
	v_lshlrev_b32_e32 v11, 6, v23
                                        ; implicit-def: $vgpr2
                                        ; implicit-def: $vgpr6
                                        ; implicit-def: $vgpr8
                                        ; implicit-def: $vgpr10
                                        ; implicit-def: $vgpr25
                                        ; implicit-def: $vgpr26
                                        ; implicit-def: $vgpr12
                                        ; implicit-def: $vgpr18
                                        ; implicit-def: $vgpr27
                                        ; implicit-def: $vgpr15
                                        ; implicit-def: $vgpr28
                                        ; implicit-def: $vgpr16
                                        ; implicit-def: $vgpr20
                                        ; implicit-def: $vgpr29
                                        ; implicit-def: $vgpr17
                                        ; implicit-def: $vgpr19
                                        ; implicit-def: $vgpr31
                                        ; implicit-def: $vgpr32
; %bb.19:
	s_or_saveexec_b64 s[4:5], s[4:5]
	v_fmac_f32_e32 v3, 0xbf3504f3, v30
	v_fmac_f32_e32 v4, 0x3f3504f3, v14
	v_lshlrev_b32_e32 v14, 3, v24
	s_xor_b64 exec, exec, s[4:5]
	s_cbranch_execz .LBB0_21
; %bb.20:
	v_mov_b32_e32 v30, v29
	v_fmac_f32_e32 v30, 0x3f3504f3, v32
	v_fmac_f32_e32 v30, 0x3f3504f3, v31
	v_fma_f32 v33, v29, 2.0, -v30
	v_mov_b32_e32 v29, v20
	v_fmac_f32_e32 v29, 0x3f3504f3, v31
	v_fmac_f32_e32 v29, 0xbf3504f3, v32
	v_fma_f32 v25, v1, 2.0, -v25
	v_fma_f32 v1, v7, 2.0, -v12
	;; [unrolled: 1-line block ×5, first 2 shown]
	v_sub_f32_e32 v12, v25, v1
	v_fma_f32 v15, v6, 2.0, -v15
	v_fma_f32 v1, v10, 2.0, -v16
	v_sub_f32_e32 v18, v20, v2
	v_fma_f32 v26, v5, 2.0, -v27
	v_fma_f32 v2, v9, 2.0, -v28
	v_sub_f32_e32 v10, v15, v1
	v_sub_f32_e32 v9, v26, v2
	;; [unrolled: 1-line block ×3, first 2 shown]
	v_add_f32_e32 v2, v18, v9
	v_fma_f32 v7, v12, 2.0, -v1
	v_fma_f32 v12, v25, 2.0, -v12
	;; [unrolled: 1-line block ×5, first 2 shown]
	v_sub_f32_e32 v9, v12, v9
	v_sub_f32_e32 v10, v16, v10
	v_fma_f32 v15, v12, 2.0, -v9
	v_lshlrev_b32_e32 v12, 9, v23
	v_fma_f32 v6, v19, 2.0, -v4
	v_fma_f32 v5, v17, 2.0, -v3
	;; [unrolled: 1-line block ×3, first 2 shown]
	v_add3_u32 v12, 0, v12, v14
	v_fma_f32 v8, v18, 2.0, -v2
	ds_write2_b64 v12, v[15:16], v[5:6] offset1:8
	ds_write2_b64 v12, v[7:8], v[32:33] offset0:16 offset1:24
	ds_write2_b64 v12, v[9:10], v[3:4] offset0:32 offset1:40
	;; [unrolled: 1-line block ×3, first 2 shown]
.LBB0_21:
	s_or_b64 exec, exec, s[4:5]
	v_bfe_u32 v20, v0, 3, 3
	v_lshlrev_b32_e32 v1, 5, v20
	s_waitcnt lgkmcnt(0)
	s_barrier
	global_load_dwordx4 v[16:19], v1, s[24:25]
	global_load_dwordx4 v[25:28], v1, s[24:25] offset:16
	v_add3_u32 v15, 0, v11, v14
	ds_read2_b32 v[7:8], v15 offset1:1
	ds_read2st64_b64 v[9:12], v15 offset0:6 offset1:12
	ds_read2st64_b64 v[29:32], v15 offset0:18 offset1:24
	s_movk_i32 s4, 0x140
	v_cmp_gt_u32_e64 s[4:5], s4, v0
	s_waitcnt vmcnt(0) lgkmcnt(0)
	s_barrier
	v_mul_f32_e32 v1, v17, v10
	v_mul_f32_e32 v2, v17, v9
	;; [unrolled: 1-line block ×4, first 2 shown]
	v_fma_f32 v1, v16, v9, -v1
	v_fmac_f32_e32 v2, v16, v10
	v_fma_f32 v5, v18, v11, -v5
	v_mul_f32_e32 v9, v26, v30
	v_mul_f32_e32 v10, v26, v29
	;; [unrolled: 1-line block ×3, first 2 shown]
	v_fmac_f32_e32 v6, v18, v12
	v_mul_f32_e32 v16, v28, v31
	v_fma_f32 v9, v25, v29, -v9
	v_fmac_f32_e32 v10, v25, v30
	v_fma_f32 v17, v27, v31, -v11
	v_add_f32_e32 v11, v1, v7
	v_add_f32_e32 v30, v8, v2
	v_fmac_f32_e32 v16, v27, v32
	v_add_f32_e32 v12, v5, v9
	v_sub_f32_e32 v19, v6, v10
	v_sub_f32_e32 v25, v1, v5
	;; [unrolled: 1-line block ×3, first 2 shown]
	v_add_f32_e32 v27, v1, v17
	v_sub_f32_e32 v28, v5, v1
	v_add_f32_e32 v31, v6, v10
	v_sub_f32_e32 v33, v5, v9
	;; [unrolled: 2-line block ×3, first 2 shown]
	v_sub_f32_e32 v34, v6, v2
	v_add_f32_e32 v6, v30, v6
	v_sub_f32_e32 v32, v1, v17
	v_fma_f32 v1, -0.5, v12, v7
	v_sub_f32_e32 v12, v16, v10
	v_add_f32_e32 v25, v25, v26
	v_add_f32_e32 v26, v2, v16
	v_fma_f32 v7, -0.5, v27, v7
	v_sub_f32_e32 v27, v10, v16
	v_add_f32_e32 v10, v6, v10
	v_sub_f32_e32 v18, v2, v16
	v_sub_f32_e32 v29, v9, v17
	v_fma_f32 v2, -0.5, v31, v8
	v_fmac_f32_e32 v8, -0.5, v26
	v_add_f32_e32 v10, v10, v16
	v_lshrrev_b32_e32 v16, 6, v0
	v_add_f32_e32 v28, v28, v29
	v_add_f32_e32 v29, v11, v12
	;; [unrolled: 1-line block ×3, first 2 shown]
	v_mov_b32_e32 v11, v1
	v_mov_b32_e32 v5, v7
	;; [unrolled: 1-line block ×4, first 2 shown]
	v_mul_u32_u24_e32 v16, 40, v16
	v_fmac_f32_e32 v1, 0xbf737871, v18
	v_fmac_f32_e32 v7, 0x3f737871, v19
	v_fmac_f32_e32 v2, 0x3f737871, v32
	v_fmac_f32_e32 v8, 0xbf737871, v33
	v_fmac_f32_e32 v11, 0x3f737871, v18
	v_fmac_f32_e32 v5, 0xbf737871, v19
	v_fmac_f32_e32 v12, 0xbf737871, v32
	v_fmac_f32_e32 v6, 0x3f737871, v33
	v_or_b32_e32 v16, v16, v20
	v_add_f32_e32 v26, v34, v27
	v_fmac_f32_e32 v1, 0xbf167918, v19
	v_fmac_f32_e32 v7, 0xbf167918, v18
	;; [unrolled: 1-line block ×8, first 2 shown]
	v_lshlrev_b32_e32 v16, 6, v16
	v_add_f32_e32 v9, v9, v17
	v_fmac_f32_e32 v1, 0x3e9e377a, v25
	v_fmac_f32_e32 v7, 0x3e9e377a, v28
	;; [unrolled: 1-line block ×8, first 2 shown]
	v_add3_u32 v14, 0, v16, v14
	ds_write2st64_b64 v14, v[9:10], v[11:12] offset1:1
	ds_write2st64_b64 v14, v[5:6], v[7:8] offset0:2 offset1:3
	ds_write_b64 v14, v[1:2] offset:2048
	s_waitcnt lgkmcnt(0)
	s_barrier
	s_and_saveexec_b64 s[6:7], s[4:5]
	s_cbranch_execz .LBB0_23
; %bb.22:
	ds_read2st64_b64 v[9:12], v15 offset1:5
	ds_read2st64_b64 v[5:8], v15 offset0:10 offset1:15
	ds_read2st64_b64 v[1:4], v15 offset0:20 offset1:25
.LBB0_23:
	s_or_b64 exec, exec, s[6:7]
	v_mul_lo_u16_e32 v0, 13, v23
	v_lshrrev_b16_e32 v0, 9, v0
	v_mul_lo_u16_e32 v0, 40, v0
	v_sub_u16_e32 v0, v23, v0
	v_and_b32_e32 v0, 0xff, v0
	v_mad_u64_u32 v[14:15], s[6:7], v0, 40, s[24:25]
	s_mul_i32 s6, s29, s26
	s_mul_hi_u32 s7, s28, s26
	global_load_dwordx4 v[17:20], v[14:15], off offset:256
	global_load_dwordx4 v[25:28], v[14:15], off offset:272
	global_load_dwordx2 v[29:30], v[14:15], off offset:288
	s_mul_i32 s12, s28, s26
	s_add_i32 s6, s7, s6
	v_mov_b32_e32 v0, s6
	v_add_co_u32_e32 v15, vcc, s12, v22
	v_addc_co_u32_e32 v16, vcc, v0, v21, vcc
	s_and_b64 s[6:7], s[4:5], s[0:1]
	s_waitcnt vmcnt(2) lgkmcnt(2)
	v_mul_f32_e32 v0, v12, v18
	v_mul_f32_e32 v14, v11, v18
	s_waitcnt lgkmcnt(1)
	v_mul_f32_e32 v18, v6, v20
	v_mul_f32_e32 v20, v5, v20
	s_waitcnt vmcnt(1)
	v_mul_f32_e32 v21, v8, v26
	v_mul_f32_e32 v22, v7, v26
	v_fma_f32 v31, v11, v17, -v0
	v_fma_f32 v0, v5, v19, -v18
	v_fmac_f32_e32 v20, v6, v19
	s_waitcnt lgkmcnt(0)
	v_mul_f32_e32 v5, v1, v28
	s_waitcnt vmcnt(0)
	v_mul_f32_e32 v6, v4, v30
	v_mul_f32_e32 v11, v3, v30
	;; [unrolled: 1-line block ×3, first 2 shown]
	v_fma_f32 v7, v7, v25, -v21
	v_fmac_f32_e32 v22, v8, v25
	v_fmac_f32_e32 v5, v2, v27
	v_fma_f32 v2, v3, v29, -v6
	v_fmac_f32_e32 v11, v4, v29
	v_fmac_f32_e32 v14, v12, v17
	v_fma_f32 v1, v1, v27, -v26
	v_add_f32_e32 v18, v7, v2
	v_add_f32_e32 v21, v22, v11
	;; [unrolled: 1-line block ×4, first 2 shown]
	v_sub_f32_e32 v6, v20, v5
	v_add_f32_e32 v8, v10, v20
	v_add_f32_e32 v12, v20, v5
	v_sub_f32_e32 v17, v0, v1
	v_add_f32_e32 v0, v31, v7
	v_sub_f32_e32 v19, v22, v11
	v_add_f32_e32 v20, v14, v22
	v_fmac_f32_e32 v31, -0.5, v18
	v_fmac_f32_e32 v14, -0.5, v21
	v_sub_f32_e32 v7, v7, v2
	v_add_f32_e32 v1, v3, v1
	v_add_f32_e32 v3, v8, v5
	v_fmac_f32_e32 v10, -0.5, v12
	v_add_f32_e32 v0, v0, v2
	v_add_f32_e32 v2, v20, v11
	v_mov_b32_e32 v8, v31
	v_fmac_f32_e32 v31, 0xbf5db3d7, v19
	v_mov_b32_e32 v18, v14
	v_fmac_f32_e32 v9, -0.5, v4
	v_mov_b32_e32 v5, v10
	v_fmac_f32_e32 v14, 0x3f5db3d7, v7
	v_add_f32_e32 v11, v1, v0
	v_add_f32_e32 v12, v3, v2
	v_sub_f32_e32 v0, v1, v0
	v_sub_f32_e32 v1, v3, v2
	v_fmac_f32_e32 v8, 0x3f5db3d7, v19
	v_fmac_f32_e32 v18, 0xbf5db3d7, v7
	v_mul_f32_e32 v2, -0.5, v31
	v_mov_b32_e32 v4, v9
	v_fmac_f32_e32 v10, 0x3f5db3d7, v17
	v_fmac_f32_e32 v5, 0xbf5db3d7, v17
	v_mul_f32_e32 v3, -0.5, v14
	v_mul_f32_e32 v17, 0x3f5db3d7, v18
	v_fmac_f32_e32 v2, 0x3f5db3d7, v14
	v_mul_f32_e32 v14, 0xbf5db3d7, v8
	v_fmac_f32_e32 v9, 0xbf5db3d7, v6
	v_fmac_f32_e32 v4, 0x3f5db3d7, v6
	;; [unrolled: 1-line block ×3, first 2 shown]
	v_fmac_f32_e32 v17, 0.5, v8
	v_fmac_f32_e32 v14, 0.5, v18
	v_add_f32_e32 v6, v9, v2
	v_add_f32_e32 v7, v10, v3
	v_sub_f32_e32 v2, v9, v2
	v_sub_f32_e32 v3, v10, v3
	v_add_f32_e32 v8, v4, v17
	v_add_f32_e32 v9, v5, v14
	v_sub_f32_e32 v4, v4, v17
	v_sub_f32_e32 v5, v5, v14
	s_and_saveexec_b64 s[0:1], s[6:7]
	s_cbranch_execz .LBB0_25
; %bb.24:
	v_mad_u64_u32 v[17:18], s[6:7], s10, v24, 0
	v_mad_u64_u32 v[19:20], s[6:7], s8, v23, 0
	v_mov_b32_e32 v10, v18
	v_mad_u64_u32 v[21:22], s[6:7], s11, v24, v[10:11]
	v_mov_b32_e32 v10, v20
	;; [unrolled: 2-line block ×3, first 2 shown]
	v_lshlrev_b64 v[21:22], 3, v[15:16]
	v_mov_b32_e32 v20, v25
	v_mov_b32_e32 v10, s15
	v_add_co_u32_e32 v14, vcc, s14, v21
	v_add_u32_e32 v25, 40, v23
	v_addc_co_u32_e32 v10, vcc, v10, v22, vcc
	v_mad_u64_u32 v[21:22], s[6:7], s8, v25, 0
	v_lshlrev_b64 v[17:18], 3, v[17:18]
	v_add_co_u32_e32 v14, vcc, v14, v17
	v_addc_co_u32_e32 v26, vcc, v10, v18, vcc
	v_mov_b32_e32 v10, v22
	v_lshlrev_b64 v[17:18], 3, v[19:20]
	v_mad_u64_u32 v[19:20], s[6:7], s9, v25, v[10:11]
	v_add_co_u32_e32 v17, vcc, v14, v17
	v_addc_co_u32_e32 v18, vcc, v26, v18, vcc
	v_mov_b32_e32 v22, v19
	global_store_dwordx2 v[17:18], v[11:12], off
	v_lshlrev_b64 v[17:18], 3, v[21:22]
	v_add_u32_e32 v21, 0x50, v23
	v_mad_u64_u32 v[19:20], s[6:7], s8, v21, 0
	v_add_u32_e32 v25, 0x78, v23
	v_add_co_u32_e32 v17, vcc, v14, v17
	v_mov_b32_e32 v10, v20
	v_mad_u64_u32 v[20:21], s[6:7], s9, v21, v[10:11]
	v_mad_u64_u32 v[21:22], s[6:7], s8, v25, 0
	v_addc_co_u32_e32 v18, vcc, v26, v18, vcc
	v_mov_b32_e32 v10, v22
	global_store_dwordx2 v[17:18], v[8:9], off
	v_lshlrev_b64 v[17:18], 3, v[19:20]
	v_mad_u64_u32 v[19:20], s[6:7], s9, v25, v[10:11]
	v_add_co_u32_e32 v17, vcc, v14, v17
	v_addc_co_u32_e32 v18, vcc, v26, v18, vcc
	v_mov_b32_e32 v22, v19
	global_store_dwordx2 v[17:18], v[6:7], off
	v_lshlrev_b64 v[17:18], 3, v[21:22]
	v_add_u32_e32 v21, 0xa0, v23
	v_mad_u64_u32 v[19:20], s[6:7], s8, v21, 0
	v_add_u32_e32 v25, 0xc8, v23
	v_add_co_u32_e32 v17, vcc, v14, v17
	v_mov_b32_e32 v10, v20
	v_mad_u64_u32 v[20:21], s[6:7], s9, v21, v[10:11]
	v_mad_u64_u32 v[21:22], s[6:7], s8, v25, 0
	v_addc_co_u32_e32 v18, vcc, v26, v18, vcc
	v_mov_b32_e32 v10, v22
	global_store_dwordx2 v[17:18], v[0:1], off
	v_lshlrev_b64 v[17:18], 3, v[19:20]
	v_mad_u64_u32 v[19:20], s[6:7], s9, v25, v[10:11]
	v_add_co_u32_e32 v17, vcc, v14, v17
	v_addc_co_u32_e32 v18, vcc, v26, v18, vcc
	v_mov_b32_e32 v22, v19
	global_store_dwordx2 v[17:18], v[4:5], off
	v_lshlrev_b64 v[17:18], 3, v[21:22]
	v_add_co_u32_e32 v17, vcc, v14, v17
	v_addc_co_u32_e32 v18, vcc, v26, v18, vcc
	global_store_dwordx2 v[17:18], v[2:3], off
.LBB0_25:
	s_or_b64 exec, exec, s[0:1]
	s_and_b64 vcc, exec, s[2:3]
	s_cbranch_vccnz .LBB0_28
; %bb.26:
	v_mov_b32_e32 v14, s23
	v_cmp_gt_u64_e32 vcc, s[20:21], v[13:14]
	s_and_b64 s[0:1], s[4:5], vcc
	s_and_saveexec_b64 s[2:3], s[0:1]
	s_cbranch_execz .LBB0_28
; %bb.27:
	v_mad_u64_u32 v[13:14], s[0:1], s10, v24, 0
	v_mad_u64_u32 v[17:18], s[0:1], s8, v23, 0
	v_mov_b32_e32 v10, v14
	v_mad_u64_u32 v[19:20], s[0:1], s11, v24, v[10:11]
	v_mov_b32_e32 v10, v18
	v_mad_u64_u32 v[20:21], s[0:1], s9, v23, v[10:11]
	v_lshlrev_b64 v[15:16], 3, v[15:16]
	v_mov_b32_e32 v14, v19
	v_mov_b32_e32 v10, s15
	v_add_co_u32_e32 v19, vcc, s14, v15
	v_lshlrev_b64 v[13:14], 3, v[13:14]
	v_addc_co_u32_e32 v10, vcc, v10, v16, vcc
	v_mov_b32_e32 v18, v20
	v_add_u32_e32 v20, 40, v23
	v_add_co_u32_e32 v19, vcc, v19, v13
	v_mad_u64_u32 v[15:16], s[0:1], s8, v20, 0
	v_addc_co_u32_e32 v21, vcc, v10, v14, vcc
	v_lshlrev_b64 v[13:14], 3, v[17:18]
	v_mov_b32_e32 v10, v16
	v_add_co_u32_e32 v13, vcc, v19, v13
	v_addc_co_u32_e32 v14, vcc, v21, v14, vcc
	global_store_dwordx2 v[13:14], v[11:12], off
	v_add_u32_e32 v14, 0x50, v23
	v_mad_u64_u32 v[16:17], s[0:1], s9, v20, v[10:11]
	v_mad_u64_u32 v[12:13], s[0:1], s8, v14, 0
	v_lshlrev_b64 v[10:11], 3, v[15:16]
	v_add_u32_e32 v16, 0x78, v23
	v_mad_u64_u32 v[13:14], s[0:1], s9, v14, v[13:14]
	v_mad_u64_u32 v[14:15], s[0:1], s8, v16, 0
	v_add_co_u32_e32 v10, vcc, v19, v10
	v_addc_co_u32_e32 v11, vcc, v21, v11, vcc
	global_store_dwordx2 v[10:11], v[8:9], off
	v_mov_b32_e32 v10, v15
	v_mad_u64_u32 v[10:11], s[0:1], s9, v16, v[10:11]
	v_lshlrev_b64 v[8:9], 3, v[12:13]
	v_add_u32_e32 v12, 0xc8, v23
	v_add_co_u32_e32 v8, vcc, v19, v8
	v_addc_co_u32_e32 v9, vcc, v21, v9, vcc
	v_mov_b32_e32 v15, v10
	v_add_u32_e32 v10, 0xa0, v23
	global_store_dwordx2 v[8:9], v[6:7], off
	v_mad_u64_u32 v[8:9], s[0:1], s8, v10, 0
	v_lshlrev_b64 v[6:7], 3, v[14:15]
	v_mad_u64_u32 v[9:10], s[0:1], s9, v10, v[9:10]
	v_mad_u64_u32 v[10:11], s[0:1], s8, v12, 0
	v_add_co_u32_e32 v6, vcc, v19, v6
	v_addc_co_u32_e32 v7, vcc, v21, v7, vcc
	global_store_dwordx2 v[6:7], v[0:1], off
	v_mov_b32_e32 v6, v11
	v_mad_u64_u32 v[6:7], s[0:1], s9, v12, v[6:7]
	v_lshlrev_b64 v[0:1], 3, v[8:9]
	v_add_co_u32_e32 v0, vcc, v19, v0
	v_addc_co_u32_e32 v1, vcc, v21, v1, vcc
	v_mov_b32_e32 v11, v6
	global_store_dwordx2 v[0:1], v[4:5], off
	v_lshlrev_b64 v[0:1], 3, v[10:11]
	v_add_co_u32_e32 v0, vcc, v19, v0
	v_addc_co_u32_e32 v1, vcc, v21, v1, vcc
	global_store_dwordx2 v[0:1], v[2:3], off
.LBB0_28:
	s_endpgm
	.section	.rodata,"a",@progbits
	.p2align	6, 0x0
	.amdhsa_kernel fft_rtc_fwd_len240_factors_8_5_6_wgs_384_tpt_48_sp_op_CI_CI_sbcc_dirReg
		.amdhsa_group_segment_fixed_size 0
		.amdhsa_private_segment_fixed_size 0
		.amdhsa_kernarg_size 112
		.amdhsa_user_sgpr_count 6
		.amdhsa_user_sgpr_private_segment_buffer 1
		.amdhsa_user_sgpr_dispatch_ptr 0
		.amdhsa_user_sgpr_queue_ptr 0
		.amdhsa_user_sgpr_kernarg_segment_ptr 1
		.amdhsa_user_sgpr_dispatch_id 0
		.amdhsa_user_sgpr_flat_scratch_init 0
		.amdhsa_user_sgpr_private_segment_size 0
		.amdhsa_uses_dynamic_stack 0
		.amdhsa_system_sgpr_private_segment_wavefront_offset 0
		.amdhsa_system_sgpr_workgroup_id_x 1
		.amdhsa_system_sgpr_workgroup_id_y 0
		.amdhsa_system_sgpr_workgroup_id_z 0
		.amdhsa_system_sgpr_workgroup_info 0
		.amdhsa_system_vgpr_workitem_id 0
		.amdhsa_next_free_vgpr 35
		.amdhsa_next_free_sgpr 51
		.amdhsa_reserve_vcc 1
		.amdhsa_reserve_flat_scratch 0
		.amdhsa_float_round_mode_32 0
		.amdhsa_float_round_mode_16_64 0
		.amdhsa_float_denorm_mode_32 3
		.amdhsa_float_denorm_mode_16_64 3
		.amdhsa_dx10_clamp 1
		.amdhsa_ieee_mode 1
		.amdhsa_fp16_overflow 0
		.amdhsa_exception_fp_ieee_invalid_op 0
		.amdhsa_exception_fp_denorm_src 0
		.amdhsa_exception_fp_ieee_div_zero 0
		.amdhsa_exception_fp_ieee_overflow 0
		.amdhsa_exception_fp_ieee_underflow 0
		.amdhsa_exception_fp_ieee_inexact 0
		.amdhsa_exception_int_div_zero 0
	.end_amdhsa_kernel
	.text
.Lfunc_end0:
	.size	fft_rtc_fwd_len240_factors_8_5_6_wgs_384_tpt_48_sp_op_CI_CI_sbcc_dirReg, .Lfunc_end0-fft_rtc_fwd_len240_factors_8_5_6_wgs_384_tpt_48_sp_op_CI_CI_sbcc_dirReg
                                        ; -- End function
	.section	.AMDGPU.csdata,"",@progbits
; Kernel info:
; codeLenInByte = 4836
; NumSgprs: 55
; NumVgprs: 35
; ScratchSize: 0
; MemoryBound: 0
; FloatMode: 240
; IeeeMode: 1
; LDSByteSize: 0 bytes/workgroup (compile time only)
; SGPRBlocks: 6
; VGPRBlocks: 8
; NumSGPRsForWavesPerEU: 55
; NumVGPRsForWavesPerEU: 35
; Occupancy: 7
; WaveLimiterHint : 1
; COMPUTE_PGM_RSRC2:SCRATCH_EN: 0
; COMPUTE_PGM_RSRC2:USER_SGPR: 6
; COMPUTE_PGM_RSRC2:TRAP_HANDLER: 0
; COMPUTE_PGM_RSRC2:TGID_X_EN: 1
; COMPUTE_PGM_RSRC2:TGID_Y_EN: 0
; COMPUTE_PGM_RSRC2:TGID_Z_EN: 0
; COMPUTE_PGM_RSRC2:TIDIG_COMP_CNT: 0
	.type	__hip_cuid_b8fce8ab03ef0544,@object ; @__hip_cuid_b8fce8ab03ef0544
	.section	.bss,"aw",@nobits
	.globl	__hip_cuid_b8fce8ab03ef0544
__hip_cuid_b8fce8ab03ef0544:
	.byte	0                               ; 0x0
	.size	__hip_cuid_b8fce8ab03ef0544, 1

	.ident	"AMD clang version 19.0.0git (https://github.com/RadeonOpenCompute/llvm-project roc-6.4.0 25133 c7fe45cf4b819c5991fe208aaa96edf142730f1d)"
	.section	".note.GNU-stack","",@progbits
	.addrsig
	.addrsig_sym __hip_cuid_b8fce8ab03ef0544
	.amdgpu_metadata
---
amdhsa.kernels:
  - .args:
      - .actual_access:  read_only
        .address_space:  global
        .offset:         0
        .size:           8
        .value_kind:     global_buffer
      - .address_space:  global
        .offset:         8
        .size:           8
        .value_kind:     global_buffer
      - .offset:         16
        .size:           8
        .value_kind:     by_value
      - .actual_access:  read_only
        .address_space:  global
        .offset:         24
        .size:           8
        .value_kind:     global_buffer
      - .actual_access:  read_only
        .address_space:  global
        .offset:         32
        .size:           8
        .value_kind:     global_buffer
      - .actual_access:  read_only
        .address_space:  global
        .offset:         40
        .size:           8
        .value_kind:     global_buffer
      - .offset:         48
        .size:           8
        .value_kind:     by_value
      - .actual_access:  read_only
        .address_space:  global
        .offset:         56
        .size:           8
        .value_kind:     global_buffer
      - .actual_access:  read_only
        .address_space:  global
        .offset:         64
        .size:           8
        .value_kind:     global_buffer
      - .offset:         72
        .size:           4
        .value_kind:     by_value
      - .actual_access:  read_only
        .address_space:  global
        .offset:         80
        .size:           8
        .value_kind:     global_buffer
      - .actual_access:  read_only
        .address_space:  global
        .offset:         88
        .size:           8
        .value_kind:     global_buffer
      - .actual_access:  read_only
        .address_space:  global
        .offset:         96
        .size:           8
        .value_kind:     global_buffer
      - .actual_access:  write_only
        .address_space:  global
        .offset:         104
        .size:           8
        .value_kind:     global_buffer
    .group_segment_fixed_size: 0
    .kernarg_segment_align: 8
    .kernarg_segment_size: 112
    .language:       OpenCL C
    .language_version:
      - 2
      - 0
    .max_flat_workgroup_size: 384
    .name:           fft_rtc_fwd_len240_factors_8_5_6_wgs_384_tpt_48_sp_op_CI_CI_sbcc_dirReg
    .private_segment_fixed_size: 0
    .sgpr_count:     55
    .sgpr_spill_count: 0
    .symbol:         fft_rtc_fwd_len240_factors_8_5_6_wgs_384_tpt_48_sp_op_CI_CI_sbcc_dirReg.kd
    .uniform_work_group_size: 1
    .uses_dynamic_stack: false
    .vgpr_count:     35
    .vgpr_spill_count: 0
    .wavefront_size: 64
amdhsa.target:   amdgcn-amd-amdhsa--gfx906
amdhsa.version:
  - 1
  - 2
...

	.end_amdgpu_metadata
